;; amdgpu-corpus repo=ROCm/rocFFT kind=compiled arch=gfx1100 opt=O3
	.text
	.amdgcn_target "amdgcn-amd-amdhsa--gfx1100"
	.amdhsa_code_object_version 6
	.protected	fft_rtc_back_len192_factors_8_3_8_wgs_192_tpt_24_dim3_dp_op_CI_CI_unitstride_sbrc_aligned_dirReg ; -- Begin function fft_rtc_back_len192_factors_8_3_8_wgs_192_tpt_24_dim3_dp_op_CI_CI_unitstride_sbrc_aligned_dirReg
	.globl	fft_rtc_back_len192_factors_8_3_8_wgs_192_tpt_24_dim3_dp_op_CI_CI_unitstride_sbrc_aligned_dirReg
	.p2align	8
	.type	fft_rtc_back_len192_factors_8_3_8_wgs_192_tpt_24_dim3_dp_op_CI_CI_unitstride_sbrc_aligned_dirReg,@function
fft_rtc_back_len192_factors_8_3_8_wgs_192_tpt_24_dim3_dp_op_CI_CI_unitstride_sbrc_aligned_dirReg: ; @fft_rtc_back_len192_factors_8_3_8_wgs_192_tpt_24_dim3_dp_op_CI_CI_unitstride_sbrc_aligned_dirReg
; %bb.0:
	s_clause 0x1
	s_load_b256 s[4:11], s[0:1], 0x0
	s_load_b64 s[20:21], s[0:1], 0x50
	s_mov_b32 s23, 0
	s_waitcnt lgkmcnt(0)
	s_load_b128 s[16:19], s[6:7], 0x8
	s_load_b64 s[12:13], s[8:9], 0x8
	s_waitcnt lgkmcnt(0)
	s_add_i32 s2, s16, -1
	s_delay_alu instid0(SALU_CYCLE_1) | instskip(NEXT) | instid1(SALU_CYCLE_1)
	s_lshr_b32 s6, s2, 3
	s_add_i32 s6, s6, 1
	s_delay_alu instid0(SALU_CYCLE_1) | instskip(SKIP_1) | instid1(VALU_DEP_1)
	v_cvt_f32_u32_e32 v1, s6
	s_sub_i32 s3, 0, s6
	v_rcp_iflag_f32_e32 v1, v1
	s_waitcnt_depctr 0xfff
	v_mul_f32_e32 v1, 0x4f7ffffe, v1
	s_delay_alu instid0(VALU_DEP_1) | instskip(NEXT) | instid1(VALU_DEP_1)
	v_cvt_u32_f32_e32 v1, v1
	v_readfirstlane_b32 s2, v1
	s_delay_alu instid0(VALU_DEP_1) | instskip(NEXT) | instid1(SALU_CYCLE_1)
	s_mul_i32 s3, s3, s2
	s_mul_hi_u32 s3, s2, s3
	s_delay_alu instid0(SALU_CYCLE_1) | instskip(NEXT) | instid1(SALU_CYCLE_1)
	s_add_i32 s2, s2, s3
	s_mul_hi_u32 s2, s15, s2
	s_delay_alu instid0(SALU_CYCLE_1) | instskip(SKIP_2) | instid1(SALU_CYCLE_1)
	s_mul_i32 s3, s2, s6
	s_add_i32 s7, s2, 1
	s_sub_i32 s3, s15, s3
	s_sub_i32 s13, s3, s6
	s_cmp_ge_u32 s3, s6
	s_cselect_b32 s2, s7, s2
	s_cselect_b32 s3, s13, s3
	s_add_i32 s7, s2, 1
	s_cmp_ge_u32 s3, s6
	s_cselect_b32 s22, s7, s2
	s_delay_alu instid0(SALU_CYCLE_1) | instskip(NEXT) | instid1(VALU_DEP_1)
	v_cmp_lt_u64_e64 s2, s[22:23], s[18:19]
	s_and_b32 vcc_lo, exec_lo, s2
	s_mov_b64 s[2:3], s[22:23]
	s_cbranch_vccnz .LBB0_2
; %bb.1:
	v_cvt_f32_u32_e32 v1, s18
	s_sub_i32 s3, 0, s18
	s_delay_alu instid0(VALU_DEP_1) | instskip(SKIP_2) | instid1(VALU_DEP_1)
	v_rcp_iflag_f32_e32 v1, v1
	s_waitcnt_depctr 0xfff
	v_mul_f32_e32 v1, 0x4f7ffffe, v1
	v_cvt_u32_f32_e32 v1, v1
	s_delay_alu instid0(VALU_DEP_1) | instskip(NEXT) | instid1(VALU_DEP_1)
	v_readfirstlane_b32 s2, v1
	s_mul_i32 s3, s3, s2
	s_delay_alu instid0(SALU_CYCLE_1) | instskip(NEXT) | instid1(SALU_CYCLE_1)
	s_mul_hi_u32 s3, s2, s3
	s_add_i32 s2, s2, s3
	s_delay_alu instid0(SALU_CYCLE_1) | instskip(NEXT) | instid1(SALU_CYCLE_1)
	s_mul_hi_u32 s2, s22, s2
	s_mul_i32 s2, s2, s18
	s_delay_alu instid0(SALU_CYCLE_1) | instskip(NEXT) | instid1(SALU_CYCLE_1)
	s_sub_i32 s2, s22, s2
	s_sub_i32 s3, s2, s18
	s_cmp_ge_u32 s2, s18
	s_cselect_b32 s2, s3, s2
	s_delay_alu instid0(SALU_CYCLE_1)
	s_sub_i32 s3, s2, s18
	s_cmp_ge_u32 s2, s18
	s_cselect_b32 s2, s3, s2
.LBB0_2:
	s_mul_i32 s3, s6, s18
	s_load_b128 s[16:19], s[8:9], 0x10
	v_cvt_f32_u32_e32 v1, s3
	s_sub_i32 s7, 0, s3
	v_mul_u32_u24_e32 v2, 0x156, v0
	s_mul_i32 s6, s22, s6
	v_lshrrev_b32_e32 v48, 3, v0
	v_rcp_iflag_f32_e32 v1, v1
	s_sub_i32 s6, s15, s6
	v_lshrrev_b32_e32 v33, 16, v2
	s_lshl_b32 s6, s6, 3
	v_and_b32_e32 v35, 7, v0
	s_mul_i32 s22, s6, s12
	v_lshlrev_b32_e32 v37, 7, v48
	v_mul_lo_u16 v2, 0xc0, v33
	v_mul_lo_u32 v9, s12, v33
	v_lshlrev_b32_e32 v33, 4, v33
	v_dual_mul_f32 v1, 0x4f7ffffe, v1 :: v_dual_mov_b32 v10, 0
	s_delay_alu instid0(VALU_DEP_4)
	v_sub_nc_u16 v3, v0, v2
	v_lshlrev_b32_e32 v46, 4, v35
	s_waitcnt lgkmcnt(0)
	s_mul_i32 s13, s17, s2
	v_cvt_u32_f32_e32 v1, v1
	s_mul_hi_u32 s14, s16, s2
	v_and_b32_e32 v45, 0xffff, v3
	s_mul_i32 s8, s16, s2
	v_add3_u32 v47, 0, v37, v46
	v_readfirstlane_b32 s9, v1
	v_lshlrev_b64 v[1:2], 4, v[9:10]
	v_add_nc_u32_e32 v9, s12, v9
	v_lshlrev_b32_e32 v7, 4, v45
	v_lshlrev_b32_e32 v34, 7, v45
	s_mul_i32 s7, s7, s9
	s_mov_b32 s17, 0x3fe6a09e
	s_mul_hi_u32 s7, s9, s7
	v_lshlrev_b64 v[3:4], 4, v[9:10]
	s_add_i32 s9, s9, s7
	v_add_nc_u32_e32 v9, s12, v9
	s_mul_hi_u32 s7, s15, s9
	s_add_i32 s9, s14, s13
	s_mul_i32 s13, s7, s3
	s_add_i32 s14, s7, 1
	s_sub_i32 s13, s15, s13
	v_lshlrev_b64 v[5:6], 4, v[9:10]
	s_sub_i32 s15, s13, s3
	s_cmp_ge_u32 s13, s3
	v_add_nc_u32_e32 v9, s12, v9
	s_cselect_b32 s7, s14, s7
	s_cselect_b32 s13, s15, s13
	s_add_i32 s14, s7, 1
	s_cmp_ge_u32 s13, s3
	v_lshlrev_b64 v[11:12], 4, v[9:10]
	s_cselect_b32 s3, s14, s7
	v_add_nc_u32_e32 v9, s12, v9
	s_mul_i32 s7, s19, s3
	s_mul_hi_u32 s13, s18, s3
	s_mul_i32 s14, s18, s3
	s_add_i32 s15, s13, s7
	v_lshlrev_b64 v[13:14], 4, v[9:10]
	s_lshl_b64 s[14:15], s[14:15], 4
	v_add_nc_u32_e32 v9, s12, v9
	s_add_u32 s7, s20, s14
	s_addc_u32 s13, s21, s15
	s_lshl_b64 s[8:9], s[8:9], 4
	v_or_b32_e32 v36, v34, v33
	s_add_u32 s7, s7, s8
	s_addc_u32 s13, s13, s9
	s_lshl_b64 s[8:9], s[22:23], 4
	v_add3_u32 v33, 0, v34, v33
	s_add_u32 s7, s7, s8
	s_addc_u32 s8, s13, s9
	v_add_co_u32 v23, s7, s7, v7
	s_delay_alu instid0(VALU_DEP_1) | instskip(SKIP_1) | instid1(VALU_DEP_3)
	v_add_co_ci_u32_e64 v24, null, s8, 0, s7
	v_add_nc_u32_e32 v35, 0, v36
	v_add_co_u32 v1, vcc_lo, v23, v1
	s_delay_alu instid0(VALU_DEP_3)
	v_add_co_ci_u32_e32 v2, vcc_lo, v24, v2, vcc_lo
	v_add_co_u32 v7, vcc_lo, v23, v3
	v_add_co_ci_u32_e32 v8, vcc_lo, v24, v4, vcc_lo
	v_add_co_u32 v15, vcc_lo, v23, v5
	v_add_co_ci_u32_e32 v16, vcc_lo, v24, v6, vcc_lo
	v_add_co_u32 v17, vcc_lo, v23, v11
	v_add_co_ci_u32_e32 v18, vcc_lo, v24, v12, vcc_lo
	v_lshlrev_b64 v[11:12], 4, v[9:10]
	v_add_nc_u32_e32 v9, s12, v9
	v_add_co_u32 v19, vcc_lo, v23, v13
	v_add_co_ci_u32_e32 v20, vcc_lo, v24, v14, vcc_lo
	s_delay_alu instid0(VALU_DEP_3) | instskip(SKIP_3) | instid1(VALU_DEP_3)
	v_lshlrev_b64 v[13:14], 4, v[9:10]
	v_add_nc_u32_e32 v9, s12, v9
	v_add_co_u32 v21, vcc_lo, v23, v11
	v_add_co_ci_u32_e32 v22, vcc_lo, v24, v12, vcc_lo
	v_lshlrev_b64 v[9:10], 4, v[9:10]
	v_add_co_u32 v25, vcc_lo, v23, v13
	v_add_co_ci_u32_e32 v26, vcc_lo, v24, v14, vcc_lo
	s_clause 0x1
	global_load_b128 v[1:4], v[1:2], off
	global_load_b128 v[5:8], v[7:8], off
	v_add_co_u32 v29, vcc_lo, v23, v9
	v_add_co_ci_u32_e32 v30, vcc_lo, v24, v10, vcc_lo
	s_clause 0x5
	global_load_b128 v[9:12], v[15:16], off
	global_load_b128 v[13:16], v[17:18], off
	;; [unrolled: 1-line block ×6, first 2 shown]
	s_clause 0x1
	s_load_b64 s[12:13], s[10:11], 0x8
	s_load_b128 s[8:11], s[10:11], 0x10
	s_mov_b32 s14, 0x667f3bcd
	s_mov_b32 s15, 0xbfe6a09e
	;; [unrolled: 1-line block ×3, first 2 shown]
	v_add_nc_u32_e32 v52, 24, v48
	s_load_b64 s[0:1], s[0:1], 0x58
	v_add_nc_u32_e32 v51, 48, v48
	v_cmp_gt_u32_e32 vcc_lo, 0x80, v0
	s_waitcnt vmcnt(7)
	ds_store_b128 v35, v[1:4]
	s_waitcnt vmcnt(6)
	ds_store_b128 v33, v[5:8] offset:16
	s_waitcnt vmcnt(5)
	ds_store_b128 v33, v[9:12] offset:32
	s_waitcnt vmcnt(4)
	ds_store_b128 v33, v[13:16] offset:48
	s_waitcnt vmcnt(3)
	ds_store_b128 v33, v[17:20] offset:64
	s_waitcnt vmcnt(2)
	ds_store_b128 v33, v[21:24] offset:80
	s_waitcnt vmcnt(1)
	ds_store_b128 v33, v[25:28] offset:96
	s_waitcnt vmcnt(0)
	ds_store_b128 v33, v[29:32] offset:112
	s_waitcnt lgkmcnt(0)
	s_barrier
	buffer_gl0_inv
	ds_load_b128 v[1:4], v47 offset:12288
	ds_load_b128 v[5:8], v47
	ds_load_b128 v[9:12], v47 offset:6144
	ds_load_b128 v[13:16], v47 offset:18432
	;; [unrolled: 1-line block ×6, first 2 shown]
	s_waitcnt lgkmcnt(0)
	s_barrier
	buffer_gl0_inv
	v_lshlrev_b32_e32 v50, 7, v51
	v_add_f64 v[1:2], v[5:6], -v[1:2]
	v_add_f64 v[3:4], v[7:8], -v[3:4]
	;; [unrolled: 1-line block ×8, first 2 shown]
	v_fma_f64 v[5:6], v[5:6], 2.0, -v[1:2]
	v_fma_f64 v[7:8], v[7:8], 2.0, -v[3:4]
	;; [unrolled: 1-line block ×6, first 2 shown]
	v_add_f64 v[33:34], v[1:2], v[15:16]
	v_add_f64 v[35:36], v[3:4], -v[13:14]
	v_fma_f64 v[13:14], v[25:26], 2.0, -v[29:30]
	v_fma_f64 v[15:16], v[27:28], 2.0, -v[31:32]
	v_add_f64 v[25:26], v[21:22], v[31:32]
	v_add_f64 v[27:28], v[23:24], -v[29:30]
	v_add_f64 v[29:30], v[5:6], -v[9:10]
	;; [unrolled: 1-line block ×3, first 2 shown]
	v_fma_f64 v[37:38], v[1:2], 2.0, -v[33:34]
	v_fma_f64 v[39:40], v[3:4], 2.0, -v[35:36]
	v_add_f64 v[3:4], v[17:18], -v[13:14]
	v_add_f64 v[1:2], v[19:20], -v[15:16]
	v_fma_f64 v[15:16], v[21:22], 2.0, -v[25:26]
	v_fma_f64 v[13:14], v[23:24], 2.0, -v[27:28]
	v_fma_f64 v[9:10], v[25:26], s[16:17], v[33:34]
	v_fma_f64 v[11:12], v[27:28], s[16:17], v[35:36]
	v_fma_f64 v[41:42], v[5:6], 2.0, -v[29:30]
	v_fma_f64 v[43:44], v[7:8], 2.0, -v[31:32]
	;; [unrolled: 1-line block ×4, first 2 shown]
	v_fma_f64 v[21:22], v[15:16], s[14:15], v[37:38]
	v_fma_f64 v[23:24], v[13:14], s[14:15], v[39:40]
	v_add_f64 v[1:2], v[29:30], v[1:2]
	v_add_f64 v[3:4], v[31:32], -v[3:4]
	v_fma_f64 v[5:6], v[27:28], s[16:17], v[9:10]
	v_fma_f64 v[7:8], v[25:26], s[14:15], v[11:12]
	v_add_f64 v[9:10], v[41:42], -v[17:18]
	v_add_f64 v[11:12], v[43:44], -v[19:20]
	v_fma_f64 v[13:14], v[13:14], s[16:17], v[21:22]
	v_fma_f64 v[15:16], v[15:16], s[14:15], v[23:24]
	v_fma_f64 v[17:18], v[29:30], 2.0, -v[1:2]
	v_fma_f64 v[19:20], v[31:32], 2.0, -v[3:4]
	;; [unrolled: 1-line block ×4, first 2 shown]
	v_lshlrev_b32_e32 v33, 7, v52
	v_mad_u32_u24 v34, 0x380, v48, v47
	s_delay_alu instid0(VALU_DEP_2)
	v_add3_u32 v49, 0, v33, v46
	v_fma_f64 v[25:26], v[41:42], 2.0, -v[9:10]
	v_fma_f64 v[27:28], v[43:44], 2.0, -v[11:12]
	;; [unrolled: 1-line block ×4, first 2 shown]
	ds_store_b128 v34, v[1:4] offset:768
	ds_store_b128 v34, v[5:8] offset:896
	;; [unrolled: 1-line block ×6, first 2 shown]
	ds_store_b128 v34, v[25:28]
	ds_store_b128 v34, v[29:32] offset:128
	s_waitcnt lgkmcnt(0)
	s_barrier
	buffer_gl0_inv
	ds_load_b128 v[13:16], v47
	ds_load_b128 v[33:36], v47 offset:8192
	ds_load_b128 v[37:40], v47 offset:16384
	;; [unrolled: 1-line block ×3, first 2 shown]
	ds_load_b128 v[17:20], v49
	ds_load_b128 v[41:44], v47 offset:19456
                                        ; implicit-def: $vgpr11_vgpr12
	s_and_saveexec_b32 s7, vcc_lo
	s_cbranch_execz .LBB0_4
; %bb.3:
	v_add3_u32 v1, 0, v50, v46
	ds_load_b128 v[1:4], v1
	ds_load_b128 v[5:8], v47 offset:14336
	ds_load_b128 v[9:12], v47 offset:22528
.LBB0_4:
	s_or_b32 exec_lo, exec_lo, s7
	v_bfe_u32 v53, v0, 3, 3
	s_mov_b32 s14, 0xe8584caa
	s_mov_b32 s15, 0xbfebb67a
	;; [unrolled: 1-line block ×4, first 2 shown]
	v_lshlrev_b32_e32 v21, 5, v53
	v_lshrrev_b32_e32 v52, 3, v52
	s_mov_b32 s7, 0
	s_clause 0x1
	global_load_b128 v[25:28], v21, s[4:5]
	global_load_b128 v[21:24], v21, s[4:5] offset:16
	v_mul_u32_u24_e32 v52, 24, v52
	s_waitcnt vmcnt(0) lgkmcnt(0)
	s_barrier
	buffer_gl0_inv
	v_or_b32_e32 v52, v52, v53
	s_delay_alu instid0(VALU_DEP_1) | instskip(NEXT) | instid1(VALU_DEP_1)
	v_lshlrev_b32_e32 v52, 7, v52
	v_add3_u32 v52, 0, v52, v46
	v_mul_f64 v[54:55], v[35:36], v[27:28]
	v_mul_f64 v[56:57], v[39:40], v[23:24]
	;; [unrolled: 1-line block ×8, first 2 shown]
	v_fma_f64 v[33:34], v[33:34], v[25:26], v[54:55]
	v_fma_f64 v[37:38], v[37:38], v[21:22], v[56:57]
	v_fma_f64 v[35:36], v[35:36], v[25:26], -v[58:59]
	v_fma_f64 v[39:40], v[39:40], v[21:22], -v[60:61]
	v_fma_f64 v[29:30], v[29:30], v[25:26], v[62:63]
	v_fma_f64 v[41:42], v[41:42], v[21:22], v[64:65]
	v_fma_f64 v[31:32], v[31:32], v[25:26], -v[66:67]
	v_fma_f64 v[43:44], v[43:44], v[21:22], -v[68:69]
	v_add_f64 v[62:63], v[13:14], v[33:34]
	v_add_f64 v[54:55], v[33:34], v[37:38]
	v_add_f64 v[70:71], v[33:34], -v[37:38]
	v_add_f64 v[56:57], v[35:36], v[39:40]
	v_add_f64 v[64:65], v[35:36], -v[39:40]
	v_add_f64 v[58:59], v[29:30], v[41:42]
	v_add_f64 v[35:36], v[15:16], v[35:36]
	;; [unrolled: 1-line block ×5, first 2 shown]
	v_add_f64 v[72:73], v[31:32], -v[43:44]
	v_add_f64 v[74:75], v[29:30], -v[41:42]
	v_fma_f64 v[54:55], v[54:55], -0.5, v[13:14]
	v_add_f64 v[13:14], v[62:63], v[37:38]
	v_fma_f64 v[56:57], v[56:57], -0.5, v[15:16]
	v_fma_f64 v[58:59], v[58:59], -0.5, v[17:18]
	v_add_f64 v[15:16], v[35:36], v[39:40]
	v_fma_f64 v[60:61], v[60:61], -0.5, v[19:20]
	v_add_f64 v[17:18], v[66:67], v[41:42]
	v_add_f64 v[19:20], v[68:69], v[43:44]
	v_fma_f64 v[29:30], v[64:65], s[14:15], v[54:55]
	v_fma_f64 v[33:34], v[64:65], s[16:17], v[54:55]
	;; [unrolled: 1-line block ×8, first 2 shown]
	v_lshrrev_b32_e32 v54, 6, v0
	s_delay_alu instid0(VALU_DEP_1) | instskip(NEXT) | instid1(VALU_DEP_1)
	v_mul_u32_u24_e32 v54, 24, v54
	v_or_b32_e32 v54, v54, v53
	s_delay_alu instid0(VALU_DEP_1) | instskip(NEXT) | instid1(VALU_DEP_1)
	v_lshlrev_b32_e32 v54, 7, v54
	v_add3_u32 v54, 0, v54, v46
	ds_store_b128 v54, v[13:16]
	ds_store_b128 v54, v[29:32] offset:1024
	ds_store_b128 v54, v[33:36] offset:2048
	ds_store_b128 v52, v[17:20]
	ds_store_b128 v52, v[37:40] offset:1024
	ds_store_b128 v52, v[41:44] offset:2048
	s_and_saveexec_b32 s13, vcc_lo
	s_cbranch_execz .LBB0_6
; %bb.5:
	v_mul_f64 v[13:14], v[5:6], v[27:28]
	v_mul_f64 v[15:16], v[9:10], v[23:24]
	;; [unrolled: 1-line block ×4, first 2 shown]
	s_delay_alu instid0(VALU_DEP_4) | instskip(NEXT) | instid1(VALU_DEP_4)
	v_fma_f64 v[7:8], v[7:8], v[25:26], -v[13:14]
	v_fma_f64 v[11:12], v[11:12], v[21:22], -v[15:16]
	s_delay_alu instid0(VALU_DEP_4) | instskip(NEXT) | instid1(VALU_DEP_4)
	v_fma_f64 v[5:6], v[5:6], v[25:26], v[17:18]
	v_fma_f64 v[9:10], v[9:10], v[21:22], v[19:20]
	s_delay_alu instid0(VALU_DEP_4) | instskip(NEXT) | instid1(VALU_DEP_4)
	v_add_f64 v[19:20], v[3:4], v[7:8]
	v_add_f64 v[13:14], v[7:8], v[11:12]
	v_add_f64 v[21:22], v[7:8], -v[11:12]
	s_delay_alu instid0(VALU_DEP_4)
	v_add_f64 v[15:16], v[5:6], v[9:10]
	v_add_f64 v[17:18], v[5:6], -v[9:10]
	v_add_f64 v[5:6], v[1:2], v[5:6]
	v_fma_f64 v[13:14], v[13:14], -0.5, v[3:4]
	v_add_f64 v[3:4], v[19:20], v[11:12]
	v_fma_f64 v[15:16], v[15:16], -0.5, v[1:2]
	s_delay_alu instid0(VALU_DEP_4) | instskip(NEXT) | instid1(VALU_DEP_4)
	v_add_f64 v[1:2], v[5:6], v[9:10]
	v_fma_f64 v[11:12], v[17:18], s[16:17], v[13:14]
	v_fma_f64 v[7:8], v[17:18], s[14:15], v[13:14]
	s_delay_alu instid0(VALU_DEP_4) | instskip(SKIP_2) | instid1(VALU_DEP_1)
	v_fma_f64 v[9:10], v[21:22], s[14:15], v[15:16]
	v_fma_f64 v[5:6], v[21:22], s[16:17], v[15:16]
	v_lshrrev_b32_e32 v13, 3, v51
	v_mul_u32_u24_e32 v13, 24, v13
	s_delay_alu instid0(VALU_DEP_1) | instskip(NEXT) | instid1(VALU_DEP_1)
	v_or_b32_e32 v13, v13, v53
	v_lshlrev_b32_e32 v13, 7, v13
	s_delay_alu instid0(VALU_DEP_1)
	v_add3_u32 v13, 0, v13, v46
	ds_store_b128 v13, v[1:4]
	ds_store_b128 v13, v[9:12] offset:1024
	ds_store_b128 v13, v[5:8] offset:2048
.LBB0_6:
	s_or_b32 exec_lo, exec_lo, s13
	v_mul_lo_u16 v1, v48, 11
	s_waitcnt lgkmcnt(0)
	s_barrier
	buffer_gl0_inv
	v_and_b32_e32 v29, 0xf8, v0
	v_lshrrev_b16 v1, 8, v1
	v_add3_u32 v33, 0, v50, v46
	s_mov_b32 s15, 0x3fe6a09e
	s_mul_i32 s9, s9, s2
	v_lshlrev_b32_e32 v29, 4, v29
	v_mul_lo_u16 v1, v1, 24
	s_mul_hi_u32 s13, s8, s2
	s_mul_i32 s8, s8, s2
	s_add_i32 s9, s13, s9
	v_add3_u32 v56, 0, v29, v46
	v_sub_nc_u16 v1, v48, v1
	s_mul_i32 s11, s11, s3
	s_mul_hi_u32 s16, s10, s3
	s_mul_i32 s2, s10, s3
	s_add_i32 s3, s16, s11
	v_and_b32_e32 v74, 0xff, v1
	s_delay_alu instid0(VALU_DEP_1) | instskip(NEXT) | instid1(VALU_DEP_1)
	v_mul_u32_u24_e32 v1, 7, v74
	v_lshlrev_b32_e32 v25, 4, v1
	s_clause 0x6
	global_load_b128 v[1:4], v25, s[4:5] offset:256
	global_load_b128 v[5:8], v25, s[4:5] offset:272
	;; [unrolled: 1-line block ×7, first 2 shown]
	ds_load_b128 v[29:32], v49
	ds_load_b128 v[33:36], v33
	ds_load_b128 v[37:40], v56 offset:12288
	ds_load_b128 v[41:44], v56 offset:18432
	;; [unrolled: 1-line block ×5, first 2 shown]
	s_mov_b32 s4, 0x667f3bcd
	s_mov_b32 s5, 0xbfe6a09e
	;; [unrolled: 1-line block ×3, first 2 shown]
	s_waitcnt vmcnt(6) lgkmcnt(6)
	v_mul_f64 v[60:61], v[31:32], v[3:4]
	v_mul_f64 v[3:4], v[29:30], v[3:4]
	s_waitcnt vmcnt(5) lgkmcnt(5)
	v_mul_f64 v[62:63], v[35:36], v[7:8]
	v_mul_f64 v[7:8], v[33:34], v[7:8]
	;; [unrolled: 3-line block ×7, first 2 shown]
	v_fma_f64 v[29:30], v[29:30], v[1:2], v[60:61]
	v_fma_f64 v[31:32], v[31:32], v[1:2], -v[3:4]
	v_fma_f64 v[33:34], v[33:34], v[5:6], v[62:63]
	v_fma_f64 v[5:6], v[35:36], v[5:6], -v[7:8]
	;; [unrolled: 2-line block ×7, first 2 shown]
	ds_load_b128 v[1:4], v47
	s_waitcnt lgkmcnt(0)
	v_add_f64 v[7:8], v[1:2], -v[7:8]
	v_add_f64 v[9:10], v[3:4], -v[9:10]
	;; [unrolled: 1-line block ×8, first 2 shown]
	v_fma_f64 v[1:2], v[1:2], 2.0, -v[7:8]
	v_fma_f64 v[3:4], v[3:4], 2.0, -v[9:10]
	v_fma_f64 v[27:28], v[33:34], 2.0, -v[11:12]
	v_fma_f64 v[5:6], v[5:6], 2.0, -v[13:14]
	v_fma_f64 v[29:30], v[29:30], 2.0, -v[15:16]
	v_fma_f64 v[31:32], v[31:32], 2.0, -v[17:18]
	v_add_f64 v[33:34], v[7:8], v[13:14]
	v_add_f64 v[35:36], v[9:10], -v[11:12]
	v_fma_f64 v[11:12], v[19:20], 2.0, -v[23:24]
	v_fma_f64 v[13:14], v[21:22], 2.0, -v[25:26]
	v_add_f64 v[19:20], v[15:16], v[25:26]
	v_add_f64 v[21:22], v[17:18], -v[23:24]
	v_add_f64 v[23:24], v[1:2], -v[27:28]
	;; [unrolled: 1-line block ×3, first 2 shown]
	v_fma_f64 v[37:38], v[7:8], 2.0, -v[33:34]
	v_fma_f64 v[39:40], v[9:10], 2.0, -v[35:36]
	v_add_f64 v[5:6], v[29:30], -v[11:12]
	v_add_f64 v[7:8], v[31:32], -v[13:14]
	v_fma_f64 v[14:15], v[15:16], 2.0, -v[19:20]
	v_fma_f64 v[12:13], v[17:18], 2.0, -v[21:22]
	v_fma_f64 v[9:10], v[19:20], s[14:15], v[33:34]
	v_fma_f64 v[16:17], v[21:22], s[14:15], v[35:36]
	v_sub_nc_u32_e32 v18, v0, v45
	v_fma_f64 v[27:28], v[1:2], 2.0, -v[23:24]
	v_fma_f64 v[41:42], v[3:4], 2.0, -v[25:26]
	;; [unrolled: 1-line block ×4, first 2 shown]
	v_fma_f64 v[43:44], v[14:15], s[4:5], v[37:38]
	v_fma_f64 v[47:48], v[12:13], s[4:5], v[39:40]
	v_add_f64 v[0:1], v[23:24], v[7:8]
	v_add_f64 v[2:3], v[25:26], -v[5:6]
	v_fma_f64 v[4:5], v[21:22], s[14:15], v[9:10]
	v_fma_f64 v[6:7], v[19:20], s[4:5], v[16:17]
	v_add_nc_u32_e32 v16, v18, v74
	v_add_f64 v[8:9], v[27:28], -v[29:30]
	v_add_f64 v[10:11], v[41:42], -v[31:32]
	v_fma_f64 v[12:13], v[12:13], s[14:15], v[43:44]
	v_mov_b32_e32 v44, 0
	v_fma_f64 v[14:15], v[14:15], s[4:5], v[47:48]
	s_lshl_b64 s[4:5], s[8:9], 4
	v_mul_lo_u32 v43, v16, s12
	s_add_u32 s4, s0, s4
	s_addc_u32 s5, s1, s5
	s_lshl_b64 s[0:1], s[6:7], 4
	v_fma_f64 v[18:19], v[25:26], 2.0, -v[2:3]
	s_add_u32 s4, s4, s0
	s_addc_u32 s5, s5, s1
	s_lshl_b64 s[0:1], s[2:3], 4
	v_lshlrev_b64 v[16:17], 4, v[43:44]
	s_add_u32 s0, s0, s4
	s_mul_i32 s2, s12, 24
	s_addc_u32 s1, s1, s5
	v_add_co_u32 v51, s0, s0, v46
	v_add_nc_u32_e32 v43, s2, v43
	v_add_co_ci_u32_e64 v52, null, s1, 0, s0
	s_delay_alu instid0(VALU_DEP_3) | instskip(NEXT) | instid1(VALU_DEP_3)
	v_add_co_u32 v47, vcc_lo, v51, v16
	v_lshlrev_b64 v[45:46], 4, v[43:44]
	v_add_nc_u32_e32 v43, s2, v43
	s_delay_alu instid0(VALU_DEP_4)
	v_add_co_ci_u32_e32 v48, vcc_lo, v52, v17, vcc_lo
	v_fma_f64 v[16:17], v[23:24], 2.0, -v[0:1]
	v_fma_f64 v[20:21], v[33:34], 2.0, -v[4:5]
	;; [unrolled: 1-line block ×3, first 2 shown]
	v_lshlrev_b64 v[49:50], 4, v[43:44]
	v_add_nc_u32_e32 v43, s2, v43
	v_add_co_u32 v32, vcc_lo, v51, v45
	v_add_co_ci_u32_e32 v33, vcc_lo, v52, v46, vcc_lo
	v_fma_f64 v[24:25], v[27:28], 2.0, -v[8:9]
	v_fma_f64 v[26:27], v[41:42], 2.0, -v[10:11]
	v_fma_f64 v[28:29], v[37:38], 2.0, -v[12:13]
	v_lshlrev_b64 v[34:35], 4, v[43:44]
	v_fma_f64 v[30:31], v[39:40], 2.0, -v[14:15]
	v_add_nc_u32_e32 v43, s2, v43
	v_add_co_u32 v36, vcc_lo, v51, v49
	v_add_co_ci_u32_e32 v37, vcc_lo, v52, v50, vcc_lo
	s_delay_alu instid0(VALU_DEP_3) | instskip(SKIP_3) | instid1(VALU_DEP_3)
	v_lshlrev_b64 v[38:39], 4, v[43:44]
	v_add_nc_u32_e32 v43, s2, v43
	v_add_co_u32 v34, vcc_lo, v51, v34
	v_add_co_ci_u32_e32 v35, vcc_lo, v52, v35, vcc_lo
	v_lshlrev_b64 v[40:41], 4, v[43:44]
	v_add_nc_u32_e32 v43, s2, v43
	v_add_co_u32 v38, vcc_lo, v51, v38
	v_add_co_ci_u32_e32 v39, vcc_lo, v52, v39, vcc_lo
	s_delay_alu instid0(VALU_DEP_3) | instskip(SKIP_3) | instid1(VALU_DEP_3)
	v_lshlrev_b64 v[45:46], 4, v[43:44]
	v_add_nc_u32_e32 v43, s2, v43
	v_add_co_u32 v40, vcc_lo, v51, v40
	v_add_co_ci_u32_e32 v41, vcc_lo, v52, v41, vcc_lo
	v_lshlrev_b64 v[42:43], 4, v[43:44]
	v_add_co_u32 v44, vcc_lo, v51, v45
	v_add_co_ci_u32_e32 v45, vcc_lo, v52, v46, vcc_lo
	s_delay_alu instid0(VALU_DEP_3) | instskip(NEXT) | instid1(VALU_DEP_4)
	v_add_co_u32 v42, vcc_lo, v51, v42
	v_add_co_ci_u32_e32 v43, vcc_lo, v52, v43, vcc_lo
	s_clause 0x7
	global_store_b128 v[47:48], v[24:27], off
	global_store_b128 v[32:33], v[28:31], off
	;; [unrolled: 1-line block ×8, first 2 shown]
	s_nop 0
	s_sendmsg sendmsg(MSG_DEALLOC_VGPRS)
	s_endpgm
	.section	.rodata,"a",@progbits
	.p2align	6, 0x0
	.amdhsa_kernel fft_rtc_back_len192_factors_8_3_8_wgs_192_tpt_24_dim3_dp_op_CI_CI_unitstride_sbrc_aligned_dirReg
		.amdhsa_group_segment_fixed_size 0
		.amdhsa_private_segment_fixed_size 0
		.amdhsa_kernarg_size 96
		.amdhsa_user_sgpr_count 15
		.amdhsa_user_sgpr_dispatch_ptr 0
		.amdhsa_user_sgpr_queue_ptr 0
		.amdhsa_user_sgpr_kernarg_segment_ptr 1
		.amdhsa_user_sgpr_dispatch_id 0
		.amdhsa_user_sgpr_private_segment_size 0
		.amdhsa_wavefront_size32 1
		.amdhsa_uses_dynamic_stack 0
		.amdhsa_enable_private_segment 0
		.amdhsa_system_sgpr_workgroup_id_x 1
		.amdhsa_system_sgpr_workgroup_id_y 0
		.amdhsa_system_sgpr_workgroup_id_z 0
		.amdhsa_system_sgpr_workgroup_info 0
		.amdhsa_system_vgpr_workitem_id 0
		.amdhsa_next_free_vgpr 76
		.amdhsa_next_free_sgpr 24
		.amdhsa_reserve_vcc 1
		.amdhsa_float_round_mode_32 0
		.amdhsa_float_round_mode_16_64 0
		.amdhsa_float_denorm_mode_32 3
		.amdhsa_float_denorm_mode_16_64 3
		.amdhsa_dx10_clamp 1
		.amdhsa_ieee_mode 1
		.amdhsa_fp16_overflow 0
		.amdhsa_workgroup_processor_mode 1
		.amdhsa_memory_ordered 1
		.amdhsa_forward_progress 0
		.amdhsa_shared_vgpr_count 0
		.amdhsa_exception_fp_ieee_invalid_op 0
		.amdhsa_exception_fp_denorm_src 0
		.amdhsa_exception_fp_ieee_div_zero 0
		.amdhsa_exception_fp_ieee_overflow 0
		.amdhsa_exception_fp_ieee_underflow 0
		.amdhsa_exception_fp_ieee_inexact 0
		.amdhsa_exception_int_div_zero 0
	.end_amdhsa_kernel
	.text
.Lfunc_end0:
	.size	fft_rtc_back_len192_factors_8_3_8_wgs_192_tpt_24_dim3_dp_op_CI_CI_unitstride_sbrc_aligned_dirReg, .Lfunc_end0-fft_rtc_back_len192_factors_8_3_8_wgs_192_tpt_24_dim3_dp_op_CI_CI_unitstride_sbrc_aligned_dirReg
                                        ; -- End function
	.section	.AMDGPU.csdata,"",@progbits
; Kernel info:
; codeLenInByte = 3888
; NumSgprs: 26
; NumVgprs: 76
; ScratchSize: 0
; MemoryBound: 0
; FloatMode: 240
; IeeeMode: 1
; LDSByteSize: 0 bytes/workgroup (compile time only)
; SGPRBlocks: 3
; VGPRBlocks: 9
; NumSGPRsForWavesPerEU: 26
; NumVGPRsForWavesPerEU: 76
; Occupancy: 15
; WaveLimiterHint : 1
; COMPUTE_PGM_RSRC2:SCRATCH_EN: 0
; COMPUTE_PGM_RSRC2:USER_SGPR: 15
; COMPUTE_PGM_RSRC2:TRAP_HANDLER: 0
; COMPUTE_PGM_RSRC2:TGID_X_EN: 1
; COMPUTE_PGM_RSRC2:TGID_Y_EN: 0
; COMPUTE_PGM_RSRC2:TGID_Z_EN: 0
; COMPUTE_PGM_RSRC2:TIDIG_COMP_CNT: 0
	.text
	.p2alignl 7, 3214868480
	.fill 96, 4, 3214868480
	.type	__hip_cuid_ab111990d038d690,@object ; @__hip_cuid_ab111990d038d690
	.section	.bss,"aw",@nobits
	.globl	__hip_cuid_ab111990d038d690
__hip_cuid_ab111990d038d690:
	.byte	0                               ; 0x0
	.size	__hip_cuid_ab111990d038d690, 1

	.ident	"AMD clang version 19.0.0git (https://github.com/RadeonOpenCompute/llvm-project roc-6.4.0 25133 c7fe45cf4b819c5991fe208aaa96edf142730f1d)"
	.section	".note.GNU-stack","",@progbits
	.addrsig
	.addrsig_sym __hip_cuid_ab111990d038d690
	.amdgpu_metadata
---
amdhsa.kernels:
  - .args:
      - .actual_access:  read_only
        .address_space:  global
        .offset:         0
        .size:           8
        .value_kind:     global_buffer
      - .actual_access:  read_only
        .address_space:  global
        .offset:         8
        .size:           8
        .value_kind:     global_buffer
      - .actual_access:  read_only
        .address_space:  global
        .offset:         16
        .size:           8
        .value_kind:     global_buffer
      - .actual_access:  read_only
        .address_space:  global
        .offset:         24
        .size:           8
        .value_kind:     global_buffer
      - .offset:         32
        .size:           8
        .value_kind:     by_value
      - .actual_access:  read_only
        .address_space:  global
        .offset:         40
        .size:           8
        .value_kind:     global_buffer
      - .actual_access:  read_only
        .address_space:  global
        .offset:         48
        .size:           8
        .value_kind:     global_buffer
      - .offset:         56
        .size:           4
        .value_kind:     by_value
      - .actual_access:  read_only
        .address_space:  global
        .offset:         64
        .size:           8
        .value_kind:     global_buffer
      - .actual_access:  read_only
        .address_space:  global
        .offset:         72
        .size:           8
        .value_kind:     global_buffer
      - .actual_access:  read_only
        .address_space:  global
        .offset:         80
        .size:           8
        .value_kind:     global_buffer
      - .actual_access:  write_only
        .address_space:  global
        .offset:         88
        .size:           8
        .value_kind:     global_buffer
    .group_segment_fixed_size: 0
    .kernarg_segment_align: 8
    .kernarg_segment_size: 96
    .language:       OpenCL C
    .language_version:
      - 2
      - 0
    .max_flat_workgroup_size: 192
    .name:           fft_rtc_back_len192_factors_8_3_8_wgs_192_tpt_24_dim3_dp_op_CI_CI_unitstride_sbrc_aligned_dirReg
    .private_segment_fixed_size: 0
    .sgpr_count:     26
    .sgpr_spill_count: 0
    .symbol:         fft_rtc_back_len192_factors_8_3_8_wgs_192_tpt_24_dim3_dp_op_CI_CI_unitstride_sbrc_aligned_dirReg.kd
    .uniform_work_group_size: 1
    .uses_dynamic_stack: false
    .vgpr_count:     76
    .vgpr_spill_count: 0
    .wavefront_size: 32
    .workgroup_processor_mode: 1
amdhsa.target:   amdgcn-amd-amdhsa--gfx1100
amdhsa.version:
  - 1
  - 2
...

	.end_amdgpu_metadata
